;; amdgpu-corpus repo=ROCm/rocFFT kind=compiled arch=gfx950 opt=O3
	.text
	.amdgcn_target "amdgcn-amd-amdhsa--gfx950"
	.amdhsa_code_object_version 6
	.protected	fft_rtc_fwd_len2048_factors_16_16_8_wgs_256_tpt_256_halfLds_dp_ip_CI_sbrr_dirReg ; -- Begin function fft_rtc_fwd_len2048_factors_16_16_8_wgs_256_tpt_256_halfLds_dp_ip_CI_sbrr_dirReg
	.globl	fft_rtc_fwd_len2048_factors_16_16_8_wgs_256_tpt_256_halfLds_dp_ip_CI_sbrr_dirReg
	.p2align	8
	.type	fft_rtc_fwd_len2048_factors_16_16_8_wgs_256_tpt_256_halfLds_dp_ip_CI_sbrr_dirReg,@function
fft_rtc_fwd_len2048_factors_16_16_8_wgs_256_tpt_256_halfLds_dp_ip_CI_sbrr_dirReg: ; @fft_rtc_fwd_len2048_factors_16_16_8_wgs_256_tpt_256_halfLds_dp_ip_CI_sbrr_dirReg
; %bb.0:
	s_load_dwordx2 s[12:13], s[0:1], 0x18
	s_load_dwordx4 s[4:7], s[0:1], 0x0
	s_load_dwordx2 s[10:11], s[0:1], 0x50
	v_mov_b32_e32 v6, s2
	v_mov_b32_e32 v4, 0
	s_waitcnt lgkmcnt(0)
	s_load_dwordx2 s[8:9], s[12:13], 0x0
	v_cmp_lt_u64_e64 s[2:3], s[6:7], 2
	v_mov_b32_e32 v7, v4
	s_and_b64 vcc, exec, s[2:3]
	v_mov_b64_e32 v[2:3], 0
	s_cbranch_vccnz .LBB0_8
; %bb.1:
	s_load_dwordx2 s[2:3], s[0:1], 0x10
	s_add_u32 s14, s12, 8
	s_addc_u32 s15, s13, 0
	s_mov_b64 s[16:17], 1
	v_mov_b64_e32 v[2:3], 0
	s_waitcnt lgkmcnt(0)
	s_add_u32 s18, s2, 8
	s_addc_u32 s19, s3, 0
.LBB0_2:                                ; =>This Inner Loop Header: Depth=1
	s_load_dwordx2 s[20:21], s[18:19], 0x0
                                        ; implicit-def: $vgpr8_vgpr9
	s_waitcnt lgkmcnt(0)
	v_or_b32_e32 v5, s21, v7
	v_cmp_ne_u64_e32 vcc, 0, v[4:5]
	s_and_saveexec_b64 s[2:3], vcc
	s_xor_b64 s[22:23], exec, s[2:3]
	s_cbranch_execz .LBB0_4
; %bb.3:                                ;   in Loop: Header=BB0_2 Depth=1
	v_cvt_f32_u32_e32 v1, s20
	v_cvt_f32_u32_e32 v5, s21
	s_sub_u32 s2, 0, s20
	s_subb_u32 s3, 0, s21
	v_fmac_f32_e32 v1, 0x4f800000, v5
	v_rcp_f32_e32 v1, v1
	s_nop 0
	v_mul_f32_e32 v1, 0x5f7ffffc, v1
	v_mul_f32_e32 v5, 0x2f800000, v1
	v_trunc_f32_e32 v5, v5
	v_fmac_f32_e32 v1, 0xcf800000, v5
	v_cvt_u32_f32_e32 v5, v5
	v_cvt_u32_f32_e32 v1, v1
	v_mul_lo_u32 v8, s2, v5
	v_mul_hi_u32 v10, s2, v1
	v_mul_lo_u32 v9, s3, v1
	v_add_u32_e32 v10, v10, v8
	v_mul_lo_u32 v12, s2, v1
	v_add_u32_e32 v13, v10, v9
	v_mul_hi_u32 v8, v1, v12
	v_mul_hi_u32 v11, v1, v13
	v_mul_lo_u32 v10, v1, v13
	v_mov_b32_e32 v9, v4
	v_lshl_add_u64 v[8:9], v[8:9], 0, v[10:11]
	v_mul_hi_u32 v11, v5, v12
	v_mul_lo_u32 v12, v5, v12
	v_add_co_u32_e32 v8, vcc, v8, v12
	v_mul_hi_u32 v10, v5, v13
	s_nop 0
	v_addc_co_u32_e32 v8, vcc, v9, v11, vcc
	v_mov_b32_e32 v9, v4
	s_nop 0
	v_addc_co_u32_e32 v11, vcc, 0, v10, vcc
	v_mul_lo_u32 v10, v5, v13
	v_lshl_add_u64 v[8:9], v[8:9], 0, v[10:11]
	v_add_co_u32_e32 v1, vcc, v1, v8
	v_mul_lo_u32 v10, s2, v1
	s_nop 0
	v_addc_co_u32_e32 v5, vcc, v5, v9, vcc
	v_mul_lo_u32 v8, s2, v5
	v_mul_hi_u32 v9, s2, v1
	v_add_u32_e32 v8, v9, v8
	v_mul_lo_u32 v9, s3, v1
	v_add_u32_e32 v12, v8, v9
	v_mul_hi_u32 v14, v5, v10
	v_mul_lo_u32 v15, v5, v10
	v_mul_hi_u32 v9, v1, v12
	v_mul_lo_u32 v8, v1, v12
	v_mul_hi_u32 v10, v1, v10
	v_mov_b32_e32 v11, v4
	v_lshl_add_u64 v[8:9], v[10:11], 0, v[8:9]
	v_add_co_u32_e32 v8, vcc, v8, v15
	v_mul_hi_u32 v13, v5, v12
	s_nop 0
	v_addc_co_u32_e32 v8, vcc, v9, v14, vcc
	v_mul_lo_u32 v10, v5, v12
	s_nop 0
	v_addc_co_u32_e32 v11, vcc, 0, v13, vcc
	v_mov_b32_e32 v9, v4
	v_lshl_add_u64 v[8:9], v[8:9], 0, v[10:11]
	v_add_co_u32_e32 v1, vcc, v1, v8
	v_mul_hi_u32 v10, v6, v1
	s_nop 0
	v_addc_co_u32_e32 v5, vcc, v5, v9, vcc
	v_mad_u64_u32 v[8:9], s[2:3], v6, v5, 0
	v_mov_b32_e32 v11, v4
	v_lshl_add_u64 v[8:9], v[10:11], 0, v[8:9]
	v_mad_u64_u32 v[12:13], s[2:3], v7, v1, 0
	v_add_co_u32_e32 v1, vcc, v8, v12
	v_mad_u64_u32 v[10:11], s[2:3], v7, v5, 0
	s_nop 0
	v_addc_co_u32_e32 v8, vcc, v9, v13, vcc
	v_mov_b32_e32 v9, v4
	s_nop 0
	v_addc_co_u32_e32 v11, vcc, 0, v11, vcc
	v_lshl_add_u64 v[8:9], v[8:9], 0, v[10:11]
	v_mul_lo_u32 v1, s21, v8
	v_mul_lo_u32 v5, s20, v9
	v_mad_u64_u32 v[10:11], s[2:3], s20, v8, 0
	v_add3_u32 v1, v11, v5, v1
	v_sub_u32_e32 v5, v7, v1
	v_mov_b32_e32 v11, s21
	v_sub_co_u32_e32 v14, vcc, v6, v10
	v_lshl_add_u64 v[12:13], v[8:9], 0, 1
	s_nop 0
	v_subb_co_u32_e64 v5, s[2:3], v5, v11, vcc
	v_subrev_co_u32_e64 v10, s[2:3], s20, v14
	v_subb_co_u32_e32 v1, vcc, v7, v1, vcc
	s_nop 0
	v_subbrev_co_u32_e64 v5, s[2:3], 0, v5, s[2:3]
	v_cmp_le_u32_e64 s[2:3], s21, v5
	v_cmp_le_u32_e32 vcc, s21, v1
	s_nop 0
	v_cndmask_b32_e64 v11, 0, -1, s[2:3]
	v_cmp_le_u32_e64 s[2:3], s20, v10
	s_nop 1
	v_cndmask_b32_e64 v10, 0, -1, s[2:3]
	v_cmp_eq_u32_e64 s[2:3], s21, v5
	s_nop 1
	v_cndmask_b32_e64 v5, v11, v10, s[2:3]
	v_lshl_add_u64 v[10:11], v[8:9], 0, 2
	v_cmp_ne_u32_e64 s[2:3], 0, v5
	s_nop 1
	v_cndmask_b32_e64 v5, v13, v11, s[2:3]
	v_cndmask_b32_e64 v11, 0, -1, vcc
	v_cmp_le_u32_e32 vcc, s20, v14
	s_nop 1
	v_cndmask_b32_e64 v13, 0, -1, vcc
	v_cmp_eq_u32_e32 vcc, s21, v1
	s_nop 1
	v_cndmask_b32_e32 v1, v11, v13, vcc
	v_cmp_ne_u32_e32 vcc, 0, v1
	v_cndmask_b32_e64 v1, v12, v10, s[2:3]
	s_nop 0
	v_cndmask_b32_e32 v9, v9, v5, vcc
	v_cndmask_b32_e32 v8, v8, v1, vcc
.LBB0_4:                                ;   in Loop: Header=BB0_2 Depth=1
	s_andn2_saveexec_b64 s[2:3], s[22:23]
	s_cbranch_execz .LBB0_6
; %bb.5:                                ;   in Loop: Header=BB0_2 Depth=1
	v_cvt_f32_u32_e32 v1, s20
	s_sub_i32 s22, 0, s20
	v_rcp_iflag_f32_e32 v1, v1
	s_nop 0
	v_mul_f32_e32 v1, 0x4f7ffffe, v1
	v_cvt_u32_f32_e32 v1, v1
	v_mul_lo_u32 v5, s22, v1
	v_mul_hi_u32 v5, v1, v5
	v_add_u32_e32 v1, v1, v5
	v_mul_hi_u32 v1, v6, v1
	v_mul_lo_u32 v5, v1, s20
	v_sub_u32_e32 v5, v6, v5
	v_add_u32_e32 v8, 1, v1
	v_subrev_u32_e32 v9, s20, v5
	v_cmp_le_u32_e32 vcc, s20, v5
	s_nop 1
	v_cndmask_b32_e32 v5, v5, v9, vcc
	v_cndmask_b32_e32 v1, v1, v8, vcc
	v_add_u32_e32 v8, 1, v1
	v_cmp_le_u32_e32 vcc, s20, v5
	v_mov_b32_e32 v9, v4
	s_nop 0
	v_cndmask_b32_e32 v8, v1, v8, vcc
.LBB0_6:                                ;   in Loop: Header=BB0_2 Depth=1
	s_or_b64 exec, exec, s[2:3]
	v_mad_u64_u32 v[10:11], s[2:3], v8, s20, 0
	s_load_dwordx2 s[2:3], s[14:15], 0x0
	v_mul_lo_u32 v1, v9, s20
	v_mul_lo_u32 v5, v8, s21
	v_add3_u32 v1, v11, v5, v1
	v_sub_co_u32_e32 v5, vcc, v6, v10
	s_add_u32 s16, s16, 1
	s_nop 0
	v_subb_co_u32_e32 v1, vcc, v7, v1, vcc
	s_addc_u32 s17, s17, 0
	s_waitcnt lgkmcnt(0)
	v_mul_lo_u32 v1, s2, v1
	v_mul_lo_u32 v6, s3, v5
	v_mad_u64_u32 v[2:3], s[2:3], s2, v5, v[2:3]
	s_add_u32 s14, s14, 8
	v_add3_u32 v3, v6, v3, v1
	s_addc_u32 s15, s15, 0
	v_mov_b64_e32 v[6:7], s[6:7]
	s_add_u32 s18, s18, 8
	v_cmp_ge_u64_e32 vcc, s[16:17], v[6:7]
	s_addc_u32 s19, s19, 0
	s_cbranch_vccnz .LBB0_9
; %bb.7:                                ;   in Loop: Header=BB0_2 Depth=1
	v_mov_b64_e32 v[6:7], v[8:9]
	s_branch .LBB0_2
.LBB0_8:
	v_mov_b64_e32 v[8:9], v[6:7]
.LBB0_9:
	s_lshl_b64 s[2:3], s[6:7], 3
	s_add_u32 s2, s12, s2
	s_addc_u32 s3, s13, s3
	s_load_dwordx2 s[6:7], s[2:3], 0x0
	s_load_dwordx2 s[12:13], s[0:1], 0x20
                                        ; implicit-def: $vgpr26_vgpr27
                                        ; implicit-def: $vgpr22_vgpr23
                                        ; implicit-def: $vgpr14_vgpr15
                                        ; implicit-def: $vgpr30_vgpr31
                                        ; implicit-def: $vgpr38_vgpr39
                                        ; implicit-def: $vgpr34_vgpr35
                                        ; implicit-def: $vgpr18_vgpr19
                                        ; implicit-def: $vgpr58_vgpr59
                                        ; implicit-def: $vgpr46_vgpr47
                                        ; implicit-def: $vgpr66_vgpr67
                                        ; implicit-def: $vgpr54_vgpr55
                                        ; implicit-def: $vgpr62_vgpr63
                                        ; implicit-def: $vgpr50_vgpr51
                                        ; implicit-def: $vgpr42_vgpr43
                                        ; implicit-def: $vgpr10_vgpr11
	s_waitcnt lgkmcnt(0)
	v_mul_lo_u32 v1, s6, v9
	v_mul_lo_u32 v4, s7, v8
	v_mad_u64_u32 v[68:69], s[0:1], s6, v8, v[2:3]
	v_add3_u32 v69, v4, v69, v1
	v_cmp_gt_u64_e32 vcc, s[12:13], v[8:9]
	v_mov_b32_e32 v1, 0
                                        ; implicit-def: $vgpr4_vgpr5
	s_and_saveexec_b64 s[2:3], vcc
	s_cbranch_execz .LBB0_13
; %bb.10:
	s_movk_i32 s0, 0x80
	v_cmp_gt_u32_e64 s[0:1], s0, v0
                                        ; implicit-def: $vgpr8_vgpr9
                                        ; implicit-def: $vgpr40_vgpr41
                                        ; implicit-def: $vgpr48_vgpr49
                                        ; implicit-def: $vgpr60_vgpr61
                                        ; implicit-def: $vgpr52_vgpr53
                                        ; implicit-def: $vgpr64_vgpr65
                                        ; implicit-def: $vgpr44_vgpr45
                                        ; implicit-def: $vgpr56_vgpr57
                                        ; implicit-def: $vgpr16_vgpr17
                                        ; implicit-def: $vgpr32_vgpr33
                                        ; implicit-def: $vgpr36_vgpr37
                                        ; implicit-def: $vgpr28_vgpr29
                                        ; implicit-def: $vgpr12_vgpr13
                                        ; implicit-def: $vgpr20_vgpr21
                                        ; implicit-def: $vgpr24_vgpr25
                                        ; implicit-def: $vgpr2_vgpr3
	s_and_saveexec_b64 s[6:7], s[0:1]
	s_cbranch_execz .LBB0_12
; %bb.11:
	v_mad_u64_u32 v[2:3], s[0:1], s8, v0, 0
	v_mov_b32_e32 v4, v3
	v_mad_u64_u32 v[4:5], s[0:1], s9, v0, v[4:5]
	v_mov_b32_e32 v3, v4
	v_lshl_add_u64 v[6:7], v[68:69], 4, s[10:11]
	v_or_b32_e32 v1, 0x80, v0
	v_lshl_add_u64 v[12:13], v[2:3], 4, v[6:7]
	v_mad_u64_u32 v[2:3], s[0:1], s8, v1, 0
	v_mov_b32_e32 v4, v3
	v_mad_u64_u32 v[4:5], s[0:1], s9, v1, v[4:5]
	v_mov_b32_e32 v3, v4
	v_or_b32_e32 v1, 0x100, v0
	v_lshl_add_u64 v[14:15], v[2:3], 4, v[6:7]
	global_load_dwordx4 v[8:11], v[12:13], off
	global_load_dwordx4 v[2:5], v[14:15], off
	v_mad_u64_u32 v[12:13], s[0:1], s8, v1, 0
	v_mov_b32_e32 v14, v13
	v_mad_u64_u32 v[14:15], s[0:1], s9, v1, v[14:15]
	v_or_b32_e32 v1, 0x180, v0
	v_mov_b32_e32 v13, v14
	v_mad_u64_u32 v[14:15], s[0:1], s8, v1, 0
	v_mov_b32_e32 v16, v15
	v_mad_u64_u32 v[16:17], s[0:1], s9, v1, v[16:17]
	v_lshl_add_u64 v[12:13], v[12:13], 4, v[6:7]
	v_mov_b32_e32 v15, v16
	v_or_b32_e32 v1, 0x200, v0
	v_lshl_add_u64 v[14:15], v[14:15], 4, v[6:7]
	global_load_dwordx4 v[24:27], v[12:13], off
	global_load_dwordx4 v[20:23], v[14:15], off
	v_mad_u64_u32 v[12:13], s[0:1], s8, v1, 0
	v_mov_b32_e32 v14, v13
	v_mad_u64_u32 v[14:15], s[0:1], s9, v1, v[14:15]
	v_mov_b32_e32 v13, v14
	v_or_b32_e32 v1, 0x280, v0
	v_lshl_add_u64 v[16:17], v[12:13], 4, v[6:7]
	v_mad_u64_u32 v[12:13], s[0:1], s8, v1, 0
	v_mov_b32_e32 v14, v13
	v_mad_u64_u32 v[14:15], s[0:1], s9, v1, v[14:15]
	v_mov_b32_e32 v13, v14
	v_or_b32_e32 v1, 0x300, v0
	v_lshl_add_u64 v[18:19], v[12:13], 4, v[6:7]
	global_load_dwordx4 v[12:15], v[16:17], off
	global_load_dwordx4 v[28:31], v[18:19], off
	v_mad_u64_u32 v[16:17], s[0:1], s8, v1, 0
	v_mov_b32_e32 v18, v17
	v_mad_u64_u32 v[18:19], s[0:1], s9, v1, v[18:19]
	v_or_b32_e32 v1, 0x380, v0
	v_mov_b32_e32 v17, v18
	v_mad_u64_u32 v[18:19], s[0:1], s8, v1, 0
	v_mov_b32_e32 v32, v19
	v_mad_u64_u32 v[32:33], s[0:1], s9, v1, v[32:33]
	v_lshl_add_u64 v[16:17], v[16:17], 4, v[6:7]
	v_mov_b32_e32 v19, v32
	v_or_b32_e32 v1, 0x400, v0
	v_lshl_add_u64 v[18:19], v[18:19], 4, v[6:7]
	global_load_dwordx4 v[36:39], v[16:17], off
	global_load_dwordx4 v[32:35], v[18:19], off
	v_mad_u64_u32 v[16:17], s[0:1], s8, v1, 0
	v_mov_b32_e32 v18, v17
	v_mad_u64_u32 v[18:19], s[0:1], s9, v1, v[18:19]
	v_mov_b32_e32 v17, v18
	v_or_b32_e32 v1, 0x480, v0
	v_lshl_add_u64 v[44:45], v[16:17], 4, v[6:7]
	v_mad_u64_u32 v[16:17], s[0:1], s8, v1, 0
	v_mov_b32_e32 v18, v17
	v_mad_u64_u32 v[18:19], s[0:1], s9, v1, v[18:19]
	v_mov_b32_e32 v17, v18
	v_or_b32_e32 v1, 0x500, v0
	v_lshl_add_u64 v[46:47], v[16:17], 4, v[6:7]
	global_load_dwordx4 v[16:19], v[44:45], off
	global_load_dwordx4 v[40:43], v[46:47], off
	v_mad_u64_u32 v[44:45], s[0:1], s8, v1, 0
	v_mov_b32_e32 v46, v45
	v_mad_u64_u32 v[46:47], s[0:1], s9, v1, v[46:47]
	v_mov_b32_e32 v45, v46
	v_or_b32_e32 v1, 0x580, v0
	v_lshl_add_u64 v[70:71], v[44:45], 4, v[6:7]
	v_mad_u64_u32 v[44:45], s[0:1], s8, v1, 0
	v_mov_b32_e32 v46, v45
	v_mad_u64_u32 v[46:47], s[0:1], s9, v1, v[46:47]
	v_mov_b32_e32 v45, v46
	v_or_b32_e32 v1, 0x600, v0
	v_lshl_add_u64 v[72:73], v[44:45], 4, v[6:7]
	;; [unrolled: 6-line block ×5, first 2 shown]
	v_mad_u64_u32 v[44:45], s[0:1], s8, v1, 0
	v_mov_b32_e32 v46, v45
	v_mad_u64_u32 v[46:47], s[0:1], s9, v1, v[46:47]
	v_mov_b32_e32 v45, v46
	v_lshl_add_u64 v[6:7], v[44:45], 4, v[6:7]
	global_load_dwordx4 v[56:59], v[70:71], off
	global_load_dwordx4 v[44:47], v[72:73], off
	;; [unrolled: 1-line block ×6, first 2 shown]
.LBB0_12:
	s_or_b64 exec, exec, s[6:7]
	v_mov_b32_e32 v1, v0
.LBB0_13:
	s_or_b64 exec, exec, s[2:3]
	s_waitcnt vmcnt(6)
	v_add_f64 v[42:43], v[4:5], -v[42:43]
	v_add_f64 v[40:41], v[2:3], -v[40:41]
	v_fma_f64 v[72:73], v[4:5], 2.0, -v[42:43]
	s_waitcnt vmcnt(2)
	v_add_f64 v[4:5], v[28:29], -v[52:53]
	v_add_f64 v[52:53], v[30:31], -v[54:55]
	;; [unrolled: 1-line block ×3, first 2 shown]
	s_waitcnt vmcnt(0)
	v_add_f64 v[50:51], v[34:35], -v[50:51]
	v_add_f64 v[54:55], v[40:41], -v[52:53]
	v_add_f64 v[90:91], v[4:5], v[42:43]
	v_fma_f64 v[2:3], v[2:3], 2.0, -v[40:41]
	v_fma_f64 v[28:29], v[28:29], 2.0, -v[4:5]
	v_add_f64 v[46:47], v[22:23], -v[46:47]
	v_add_f64 v[48:49], v[32:33], -v[48:49]
	v_fma_f64 v[4:5], v[40:41], 2.0, -v[54:55]
	v_fma_f64 v[40:41], v[42:43], 2.0, -v[90:91]
	v_add_f64 v[42:43], v[44:45], -v[50:51]
	s_mov_b32 s2, 0x667f3bcd
	v_fma_f64 v[32:33], v[32:33], 2.0, -v[48:49]
	v_fma_f64 v[34:35], v[34:35], 2.0, -v[50:51]
	v_add_f64 v[48:49], v[46:47], v[48:49]
	v_fma_f64 v[50:51], v[44:45], 2.0, -v[42:43]
	s_mov_b32 s3, 0x3fe6a09e
	s_mov_b32 s1, 0xbfe6a09e
	;; [unrolled: 1-line block ×3, first 2 shown]
	v_add_f64 v[58:59], v[26:27], -v[58:59]
	v_fma_f64 v[20:21], v[20:21], 2.0, -v[44:45]
	v_fma_f64 v[22:23], v[22:23], 2.0, -v[46:47]
	;; [unrolled: 1-line block ×3, first 2 shown]
	v_fma_f64 v[44:45], s[0:1], v[50:51], v[4:5]
	v_add_f64 v[64:65], v[12:13], -v[64:65]
	v_add_f64 v[66:67], v[14:15], -v[66:67]
	;; [unrolled: 1-line block ×3, first 2 shown]
	v_fma_f64 v[56:57], v[26:27], 2.0, -v[58:59]
	v_add_f64 v[26:27], v[36:37], -v[60:61]
	v_add_f64 v[60:61], v[38:39], -v[62:63]
	v_fmac_f64_e32 v[44:45], s[0:1], v[46:47]
	v_fma_f64 v[46:47], s[0:1], v[46:47], v[40:41]
	v_add_f64 v[16:17], v[8:9], -v[16:17]
	v_fmac_f64_e32 v[46:47], s[2:3], v[50:51]
	v_fma_f64 v[70:71], s[2:3], v[48:49], v[90:91]
	v_fma_f64 v[8:9], v[8:9], 2.0, -v[16:17]
	v_fma_f64 v[12:13], v[12:13], 2.0, -v[64:65]
	v_add_f64 v[50:51], v[16:17], -v[66:67]
	v_add_f64 v[74:75], v[6:7], -v[60:61]
	v_fma_f64 v[24:25], v[24:25], 2.0, -v[6:7]
	v_fma_f64 v[36:37], v[36:37], 2.0, -v[26:27]
	v_fma_f64 v[62:63], s[2:3], v[42:43], v[54:55]
	v_fmac_f64_e32 v[70:71], s[2:3], v[42:43]
	v_add_f64 v[42:43], v[8:9], -v[12:13]
	v_fma_f64 v[12:13], v[16:17], 2.0, -v[50:51]
	v_add_f64 v[76:77], v[58:59], v[26:27]
	v_fma_f64 v[78:79], v[6:7], 2.0, -v[74:75]
	v_add_f64 v[16:17], v[24:25], -v[36:37]
	v_fma_f64 v[80:81], v[58:59], 2.0, -v[76:77]
	v_add_f64 v[26:27], v[2:3], -v[28:29]
	v_add_f64 v[28:29], v[20:21], -v[32:33]
	v_fma_f64 v[32:33], s[0:1], v[78:79], v[12:13]
	v_fma_f64 v[8:9], v[8:9], 2.0, -v[42:43]
	v_fma_f64 v[24:25], v[24:25], 2.0, -v[16:17]
	;; [unrolled: 1-line block ×4, first 2 shown]
	v_fmac_f64_e32 v[32:33], s[0:1], v[80:81]
	v_fma_f64 v[30:31], v[30:31], 2.0, -v[52:53]
	v_add_f64 v[20:21], v[8:9], -v[24:25]
	v_fma_f64 v[24:25], v[12:13], 2.0, -v[32:33]
	v_add_f64 v[52:53], v[2:3], -v[6:7]
	v_fma_f64 v[12:13], v[4:5], 2.0, -v[44:45]
	s_mov_b32 s7, 0xbfed906b
	s_mov_b32 s6, 0xcf328d46
	;; [unrolled: 1-line block ×3, first 2 shown]
	v_fmac_f64_e32 v[62:63], s[0:1], v[48:49]
	v_fma_f64 v[8:9], v[8:9], 2.0, -v[20:21]
	v_fma_f64 v[2:3], v[2:3], 2.0, -v[52:53]
	;; [unrolled: 1-line block ×3, first 2 shown]
	v_fma_f64 v[4:5], s[6:7], v[12:13], v[24:25]
	s_mov_b32 s13, 0xbfd87de2
	v_fma_f64 v[38:39], v[38:39], 2.0, -v[60:61]
	v_add_f64 v[2:3], v[8:9], -v[2:3]
	v_fmac_f64_e32 v[4:5], s[12:13], v[48:49]
	v_fma_f64 v[6:7], v[8:9], 2.0, -v[2:3]
	v_fma_f64 v[8:9], v[24:25], 2.0, -v[4:5]
	v_add_f64 v[60:61], v[56:57], -v[38:39]
	v_add_f64 v[24:25], v[72:73], -v[30:31]
	;; [unrolled: 1-line block ×3, first 2 shown]
	v_fma_f64 v[92:93], s[2:3], v[74:75], v[50:51]
	v_add_f64 v[34:35], v[42:43], -v[60:61]
	v_fmac_f64_e32 v[92:93], s[0:1], v[76:77]
	v_add_f64 v[82:83], v[26:27], -v[30:31]
	v_fma_f64 v[58:59], v[72:73], 2.0, -v[24:25]
	v_fma_f64 v[22:23], v[22:23], 2.0, -v[30:31]
	;; [unrolled: 1-line block ×4, first 2 shown]
	v_add_f64 v[84:85], v[28:29], v[24:25]
	v_fma_f64 v[86:87], v[26:27], 2.0, -v[82:83]
	v_fma_f64 v[54:55], v[54:55], 2.0, -v[62:63]
	s_mov_b32 s15, 0x3fd87de2
	s_mov_b32 s14, s12
	v_fma_f64 v[88:89], v[24:25], 2.0, -v[84:85]
	v_fma_f64 v[50:51], v[90:91], 2.0, -v[70:71]
	v_fma_f64 v[24:25], s[0:1], v[86:87], v[36:37]
	v_fma_f64 v[26:27], s[12:13], v[54:55], v[38:39]
	v_add_f64 v[72:73], v[58:59], -v[22:23]
	v_fma_f64 v[30:31], s[14:15], v[44:45], v[32:33]
	v_fmac_f64_e32 v[24:25], s[0:1], v[88:89]
	v_fmac_f64_e32 v[26:27], s[6:7], v[50:51]
	v_add_f64 v[28:29], v[20:21], -v[72:73]
	v_fmac_f64_e32 v[30:31], s[6:7], v[46:47]
	s_mov_b32 s7, 0x3fed906b
	v_fma_f64 v[40:41], v[36:37], 2.0, -v[24:25]
	v_fma_f64 v[36:37], v[20:21], 2.0, -v[28:29]
	v_fma_f64 v[20:21], s[2:3], v[82:83], v[34:35]
	v_fma_f64 v[22:23], s[6:7], v[62:63], v[92:93]
	v_fmac_f64_e32 v[20:21], s[0:1], v[84:85]
	v_fmac_f64_e32 v[22:23], s[12:13], v[70:71]
	s_movk_i32 s0, 0x80
	v_fma_f64 v[42:43], v[38:39], 2.0, -v[26:27]
	v_fma_f64 v[38:39], v[32:33], 2.0, -v[30:31]
	;; [unrolled: 1-line block ×4, first 2 shown]
	v_cmp_gt_u32_e64 s[0:1], s0, v0
	v_lshl_add_u32 v98, v0, 7, 0
	s_and_saveexec_b64 s[6:7], s[0:1]
	s_cbranch_execz .LBB0_15
; %bb.14:
	ds_write_b128 v98, v[6:9]
	ds_write_b128 v98, v[40:43] offset:16
	ds_write_b128 v98, v[36:39] offset:32
	;; [unrolled: 1-line block ×7, first 2 shown]
.LBB0_15:
	s_or_b64 exec, exec, s[6:7]
	v_mul_f64 v[94:95], v[78:79], s[2:3]
	v_mul_f64 v[96:97], v[80:81], s[2:3]
	;; [unrolled: 1-line block ×8, first 2 shown]
	v_lshl_add_u32 v82, v0, 3, 0
	v_lshlrev_b32_e32 v83, 3, v0
	s_waitcnt lgkmcnt(0)
	s_barrier
	s_and_saveexec_b64 s[2:3], s[0:1]
	s_cbranch_execz .LBB0_17
; %bb.16:
	v_add_u32_e32 v2, 0, v83
	ds_read2st64_b64 v[6:9], v82 offset1:2
	ds_read2st64_b64 v[40:43], v82 offset0:4 offset1:6
	ds_read2st64_b64 v[36:39], v82 offset0:8 offset1:10
	;; [unrolled: 1-line block ×3, first 2 shown]
	v_or_b32_e32 v2, 0x1c00, v83
	v_add_u32_e32 v20, 0, v2
	ds_read2st64_b64 v[2:5], v82 offset0:16 offset1:18
	ds_read2st64_b64 v[24:27], v82 offset0:20 offset1:22
	;; [unrolled: 1-line block ×3, first 2 shown]
	v_or_b32_e32 v21, 0x3c00, v83
	v_add_u32_e32 v21, 0, v21
	ds_read_b64 v[34:35], v20
	ds_read_b64 v[22:23], v21
	s_waitcnt lgkmcnt(5)
	v_mov_b64_e32 v[32:33], v[84:85]
	v_mov_b64_e32 v[20:21], v[86:87]
.LBB0_17:
	s_or_b64 exec, exec, s[2:3]
	v_add_f64 v[18:19], v[10:11], -v[18:19]
	v_add_f64 v[64:65], v[64:65], v[18:19]
	v_fma_f64 v[10:11], v[10:11], 2.0, -v[18:19]
	v_fma_f64 v[14:15], v[14:15], 2.0, -v[66:67]
	;; [unrolled: 1-line block ×3, first 2 shown]
	v_add_f64 v[14:15], v[10:11], -v[14:15]
	v_fma_f64 v[56:57], v[56:57], 2.0, -v[60:61]
	v_add_f64 v[60:61], v[18:19], -v[96:97]
	v_add_f64 v[60:61], v[94:95], v[60:61]
	v_add_f64 v[84:85], v[16:17], v[14:15]
	v_fma_f64 v[10:11], v[10:11], 2.0, -v[14:15]
	v_fma_f64 v[18:19], v[18:19], 2.0, -v[60:61]
	;; [unrolled: 1-line block ×3, first 2 shown]
	v_add_f64 v[14:15], v[92:93], v[64:65]
	s_mov_b32 s3, 0xbfed906b
	s_mov_b32 s2, 0xcf328d46
	;; [unrolled: 1-line block ×3, first 2 shown]
	v_add_f64 v[86:87], v[90:91], v[14:15]
	v_fma_f64 v[16:17], s[2:3], v[48:49], v[18:19]
	s_mov_b32 s7, 0x3fd87de2
	v_fma_f64 v[88:89], v[64:65], 2.0, -v[86:87]
	v_fmac_f64_e32 v[16:17], s[6:7], v[12:13]
	s_mov_b32 s13, 0xbfd87de2
	s_mov_b32 s12, s6
	v_add_f64 v[56:57], v[10:11], -v[56:57]
	v_fma_f64 v[12:13], v[18:19], 2.0, -v[16:17]
	v_add_f64 v[18:19], v[66:67], -v[80:81]
	v_fma_f64 v[50:51], s[12:13], v[50:51], v[88:89]
	s_mov_b32 s3, 0x3fed906b
	v_fma_f64 v[10:11], v[10:11], 2.0, -v[56:57]
	v_fma_f64 v[14:15], v[58:59], 2.0, -v[72:73]
	v_add_f64 v[48:49], v[78:79], v[18:19]
	v_fmac_f64_e32 v[50:51], s[2:3], v[54:55]
	v_fma_f64 v[54:55], s[6:7], v[46:47], v[60:61]
	v_add_f64 v[18:19], v[76:77], v[84:85]
	v_fma_f64 v[46:47], s[2:3], v[70:71], v[86:87]
	v_add_f64 v[14:15], v[10:11], -v[14:15]
	v_add_f64 v[52:53], v[52:53], v[56:57]
	v_fmac_f64_e32 v[54:55], s[2:3], v[44:45]
	v_add_f64 v[44:45], v[74:75], v[18:19]
	v_fmac_f64_e32 v[46:47], s[6:7], v[62:63]
	v_fma_f64 v[10:11], v[10:11], 2.0, -v[14:15]
	v_fma_f64 v[64:65], v[66:67], 2.0, -v[48:49]
	;; [unrolled: 1-line block ×7, first 2 shown]
	s_waitcnt lgkmcnt(0)
	s_barrier
	s_and_saveexec_b64 s[2:3], s[0:1]
	s_cbranch_execz .LBB0_19
; %bb.18:
	ds_write_b128 v98, v[10:13]
	ds_write_b128 v98, v[64:67] offset:16
	ds_write_b128 v98, v[56:59] offset:32
	;; [unrolled: 1-line block ×7, first 2 shown]
.LBB0_19:
	s_or_b64 exec, exec, s[2:3]
	s_waitcnt lgkmcnt(0)
	s_barrier
	s_and_saveexec_b64 s[2:3], s[0:1]
	s_cbranch_execz .LBB0_21
; %bb.20:
	v_add_u32_e32 v14, 0, v83
	ds_read2st64_b64 v[10:13], v82 offset1:2
	ds_read2st64_b64 v[64:67], v82 offset0:4 offset1:6
	ds_read2st64_b64 v[56:59], v82 offset0:8 offset1:10
	ds_read2st64_b64 v[70:73], v14 offset0:12 offset1:28
	v_or_b32_e32 v14, 0x1c00, v83
	v_add_u32_e32 v18, 0, v14
	ds_read2st64_b64 v[14:17], v82 offset0:16 offset1:18
	ds_read2st64_b64 v[48:51], v82 offset0:20 offset1:22
	;; [unrolled: 1-line block ×3, first 2 shown]
	v_or_b32_e32 v19, 0x3c00, v83
	v_add_u32_e32 v19, 0, v19
	ds_read_b64 v[62:63], v18
	ds_read_b64 v[46:47], v19
	s_waitcnt lgkmcnt(5)
	v_mov_b64_e32 v[44:45], v[72:73]
	v_mov_b64_e32 v[60:61], v[70:71]
.LBB0_21:
	s_or_b64 exec, exec, s[2:3]
	v_and_b32_e32 v80, 15, v0
	v_mul_u32_u24_e32 v18, 15, v80
	v_lshlrev_b32_e32 v81, 4, v18
	global_load_dwordx4 v[70:73], v81, s[4:5] offset:16
	global_load_dwordx4 v[74:77], v81, s[4:5] offset:32
	;; [unrolled: 1-line block ×3, first 2 shown]
	global_load_dwordx4 v[88:91], v81, s[4:5]
	global_load_dwordx4 v[92:95], v81, s[4:5] offset:64
	s_mov_b32 s2, 0x667f3bcd
	s_mov_b32 s3, 0x3fe6a09e
	;; [unrolled: 1-line block ×4, first 2 shown]
	s_waitcnt vmcnt(4)
	v_mul_f64 v[18:19], v[64:65], v[72:73]
	v_mul_f64 v[78:79], v[40:41], v[72:73]
	v_fma_f64 v[96:97], v[40:41], v[70:71], -v[18:19]
	v_fmac_f64_e32 v[78:79], v[64:65], v[70:71]
	global_load_dwordx4 v[70:73], v81, s[4:5] offset:80
	s_waitcnt vmcnt(4)
	v_mul_f64 v[18:19], v[66:67], v[76:77]
	v_mul_f64 v[76:77], v[42:43], v[76:77]
	v_fmac_f64_e32 v[76:77], v[66:67], v[74:75]
	global_load_dwordx4 v[64:67], v81, s[4:5] offset:96
	v_fma_f64 v[42:43], v[42:43], v[74:75], -v[18:19]
	s_waitcnt vmcnt(4)
	v_mul_f64 v[18:19], v[56:57], v[86:87]
	v_mul_f64 v[40:41], v[36:37], v[86:87]
	v_fma_f64 v[18:19], v[36:37], v[84:85], -v[18:19]
	v_fmac_f64_e32 v[40:41], v[56:57], v[84:85]
	s_waitcnt vmcnt(2)
	v_mul_f64 v[36:37], v[58:59], v[94:95]
	v_mul_f64 v[74:75], v[38:39], v[94:95]
	v_fma_f64 v[84:85], v[38:39], v[92:93], -v[36:37]
	global_load_dwordx4 v[36:39], v81, s[4:5] offset:112
	v_fmac_f64_e32 v[74:75], v[58:59], v[92:93]
	s_waitcnt vmcnt(2)
	v_mul_f64 v[56:57], v[60:61], v[72:73]
	v_mul_f64 v[72:73], v[32:33], v[72:73]
	v_fma_f64 v[86:87], v[32:33], v[70:71], -v[56:57]
	global_load_dwordx4 v[56:59], v81, s[4:5] offset:144
	s_waitcnt vmcnt(2) lgkmcnt(1)
	v_mul_f64 v[32:33], v[62:63], v[66:67]
	v_fmac_f64_e32 v[72:73], v[60:61], v[70:71]
	v_mul_f64 v[66:67], v[34:35], v[66:67]
	v_fma_f64 v[70:71], v[34:35], v[64:65], -v[32:33]
	global_load_dwordx4 v[32:35], v81, s[4:5] offset:160
	v_fmac_f64_e32 v[66:67], v[62:63], v[64:65]
	global_load_dwordx4 v[60:63], v81, s[4:5] offset:128
	s_waitcnt vmcnt(2)
	v_mul_f64 v[64:65], v[48:49], v[58:59]
	v_mul_f64 v[92:93], v[24:25], v[58:59]
	v_fma_f64 v[64:65], v[24:25], v[56:57], -v[64:65]
	v_fmac_f64_e32 v[92:93], v[48:49], v[56:57]
	global_load_dwordx4 v[56:59], v81, s[4:5] offset:176
	s_waitcnt vmcnt(2)
	v_mul_f64 v[24:25], v[50:51], v[34:35]
	v_fma_f64 v[48:49], v[26:27], v[32:33], -v[24:25]
	v_mul_f64 v[94:95], v[26:27], v[34:35]
	global_load_dwordx4 v[24:27], v81, s[4:5] offset:192
	v_fmac_f64_e32 v[94:95], v[50:51], v[32:33]
	v_add_f64 v[48:49], v[42:43], -v[48:49]
	v_fma_f64 v[42:43], v[42:43], 2.0, -v[48:49]
	s_waitcnt vmcnt(1)
	v_mul_f64 v[32:33], v[52:53], v[58:59]
	v_mul_f64 v[50:51], v[28:29], v[58:59]
	v_fma_f64 v[28:29], v[28:29], v[56:57], -v[32:33]
	global_load_dwordx4 v[32:35], v81, s[4:5] offset:208
	v_fmac_f64_e32 v[50:51], v[52:53], v[56:57]
	s_waitcnt vmcnt(1)
	v_mul_f64 v[52:53], v[54:55], v[26:27]
	v_fma_f64 v[52:53], v[30:31], v[24:25], -v[52:53]
	v_mul_f64 v[30:31], v[30:31], v[26:27]
	v_fmac_f64_e32 v[30:31], v[54:55], v[24:25]
	global_load_dwordx4 v[24:27], v81, s[4:5] offset:224
	v_mul_f64 v[54:55], v[12:13], v[90:91]
	v_mul_f64 v[58:59], v[16:17], v[62:63]
	;; [unrolled: 1-line block ×4, first 2 shown]
	v_fma_f64 v[54:55], v[8:9], v[88:89], -v[54:55]
	v_fma_f64 v[4:5], v[4:5], v[60:61], -v[58:59]
	v_fmac_f64_e32 v[62:63], v[16:17], v[60:61]
	v_fmac_f64_e32 v[56:57], v[12:13], v[88:89]
	v_add_f64 v[52:53], v[84:85], -v[52:53]
	v_fma_f64 v[60:61], v[84:85], 2.0, -v[52:53]
	v_add_f64 v[58:59], v[56:57], -v[62:63]
	v_add_f64 v[30:31], v[74:75], -v[30:31]
	v_fma_f64 v[56:57], v[56:57], 2.0, -v[58:59]
	v_fma_f64 v[62:63], v[74:75], 2.0, -v[30:31]
	v_add_f64 v[52:53], v[58:59], v[52:53]
	v_lshlrev_b32_e32 v81, 4, v0
	s_waitcnt lgkmcnt(0)
	s_barrier
	s_waitcnt vmcnt(1)
	v_mul_f64 v[16:17], v[20:21], v[34:35]
	v_mul_f64 v[8:9], v[44:45], v[34:35]
	v_fmac_f64_e32 v[16:17], v[44:45], v[32:33]
	v_add_f64 v[44:45], v[54:55], -v[4:5]
	v_fma_f64 v[20:21], v[20:21], v[32:33], -v[8:9]
	v_add_f64 v[16:17], v[72:73], -v[16:17]
	s_waitcnt vmcnt(0)
	v_mul_f64 v[12:13], v[46:47], v[26:27]
	v_mul_f64 v[26:27], v[22:23], v[26:27]
	v_fma_f64 v[22:23], v[22:23], v[24:25], -v[12:13]
	v_fmac_f64_e32 v[26:27], v[46:47], v[24:25]
	v_add_f64 v[24:25], v[96:97], -v[64:65]
	v_fma_f64 v[54:55], v[54:55], 2.0, -v[44:45]
	v_add_f64 v[64:65], v[76:77], -v[94:95]
	v_add_f64 v[32:33], v[78:79], -v[92:93]
	;; [unrolled: 1-line block ×3, first 2 shown]
	v_fma_f64 v[46:47], v[72:73], 2.0, -v[16:17]
	v_fma_f64 v[72:73], v[76:77], 2.0, -v[64:65]
	v_add_f64 v[22:23], v[70:71], -v[22:23]
	v_add_f64 v[26:27], v[66:67], -v[26:27]
	;; [unrolled: 1-line block ×3, first 2 shown]
	v_fma_f64 v[34:35], v[86:87], 2.0, -v[20:21]
	v_fma_f64 v[70:71], v[70:71], 2.0, -v[22:23]
	;; [unrolled: 1-line block ×3, first 2 shown]
	v_add_f64 v[74:75], v[24:25], -v[16:17]
	v_add_f64 v[20:21], v[32:33], v[20:21]
	v_fma_f64 v[16:17], v[54:55], 2.0, -v[76:77]
	v_add_f64 v[54:55], v[44:45], -v[30:31]
	v_add_f64 v[26:27], v[48:49], -v[26:27]
	;; [unrolled: 1-line block ×3, first 2 shown]
	v_fma_f64 v[28:29], v[78:79], 2.0, -v[32:33]
	v_fma_f64 v[32:33], v[32:33], 2.0, -v[20:21]
	v_add_f64 v[78:79], v[56:57], -v[62:63]
	v_fma_f64 v[44:45], v[44:45], 2.0, -v[54:55]
	v_add_f64 v[84:85], v[42:43], -v[70:71]
	v_add_f64 v[66:67], v[72:73], -v[66:67]
	v_add_f64 v[22:23], v[64:65], v[22:23]
	v_fma_f64 v[48:49], v[48:49], 2.0, -v[26:27]
	v_add_f64 v[12:13], v[40:41], -v[50:51]
	v_add_f64 v[50:51], v[28:29], -v[46:47]
	v_fma_f64 v[46:47], v[56:57], 2.0, -v[78:79]
	v_fma_f64 v[56:57], v[58:59], 2.0, -v[52:53]
	;; [unrolled: 1-line block ×5, first 2 shown]
	v_mul_f64 v[72:73], v[32:33], s[2:3]
	v_fma_f64 v[32:33], s[6:7], v[48:49], v[44:45]
	v_fma_f64 v[4:5], v[96:97], 2.0, -v[24:25]
	v_fma_f64 v[24:25], v[24:25], 2.0, -v[74:75]
	v_add_f64 v[62:63], v[46:47], -v[42:43]
	v_fma_f64 v[42:43], s[6:7], v[58:59], v[56:57]
	v_fmac_f64_e32 v[32:33], s[6:7], v[58:59]
	v_mul_f64 v[70:71], v[24:25], s[2:3]
	v_mul_f64 v[64:65], v[20:21], s[2:3]
	v_fmac_f64_e32 v[42:43], s[2:3], v[48:49]
	v_fma_f64 v[58:59], v[44:45], 2.0, -v[32:33]
	v_add_f64 v[20:21], v[76:77], -v[66:67]
	v_add_f64 v[24:25], v[78:79], v[84:85]
	v_fma_f64 v[44:45], s[2:3], v[26:27], v[54:55]
	v_fma_f64 v[48:49], s[2:3], v[22:23], v[52:53]
	v_fma_f64 v[76:77], v[76:77], 2.0, -v[20:21]
	v_fma_f64 v[78:79], v[78:79], 2.0, -v[24:25]
	v_fmac_f64_e32 v[44:45], s[6:7], v[22:23]
	v_fmac_f64_e32 v[48:49], s[2:3], v[26:27]
	v_add_f64 v[34:35], v[4:5], -v[34:35]
	v_mul_f64 v[60:61], v[74:75], s[2:3]
	v_add_f64 v[30:31], v[16:17], -v[30:31]
	v_fma_f64 v[74:75], v[56:57], 2.0, -v[42:43]
	v_fma_f64 v[56:57], v[54:55], 2.0, -v[44:45]
	;; [unrolled: 1-line block ×3, first 2 shown]
	v_mul_f64 v[76:77], v[76:77], s[2:3]
	v_mul_f64 v[78:79], v[78:79], s[2:3]
	;; [unrolled: 1-line block ×4, first 2 shown]
	s_and_saveexec_b64 s[2:3], s[0:1]
	s_cbranch_execz .LBB0_23
; %bb.22:
	v_mul_f64 v[20:21], v[14:15], v[38:39]
	v_fma_f64 v[20:21], v[2:3], v[36:37], -v[20:21]
	v_add_f64 v[20:21], v[6:7], -v[20:21]
	v_add_f64 v[22:23], v[20:21], -v[12:13]
	v_fma_f64 v[6:7], v[6:7], 2.0, -v[20:21]
	v_fma_f64 v[18:19], v[18:19], 2.0, -v[8:9]
	v_fma_f64 v[20:21], v[20:21], 2.0, -v[22:23]
	v_add_f64 v[24:25], v[22:23], v[60:61]
	v_add_f64 v[18:19], v[6:7], -v[18:19]
	v_add_f64 v[90:91], v[20:21], -v[70:71]
	;; [unrolled: 1-line block ×3, first 2 shown]
	s_mov_b32 s7, 0x3fed906b
	s_mov_b32 s6, 0xcf328d46
	v_add_f64 v[90:91], v[90:91], -v[72:73]
	v_fma_f64 v[6:7], v[6:7], 2.0, -v[18:19]
	v_fma_f64 v[4:5], v[4:5], 2.0, -v[34:35]
	v_fma_f64 v[26:27], s[6:7], v[44:45], v[24:25]
	s_mov_b32 s12, 0xa6aea964
	s_mov_b32 s7, 0xbfed906b
	v_add_f64 v[4:5], v[6:7], -v[4:5]
	v_fma_f64 v[20:21], v[20:21], 2.0, -v[90:91]
	s_mov_b32 s13, 0xbfd87de2
	v_add_f64 v[86:87], v[18:19], -v[50:51]
	v_fma_f64 v[92:93], s[6:7], v[58:59], v[20:21]
	v_fma_f64 v[6:7], v[6:7], 2.0, -v[4:5]
	v_fma_f64 v[16:17], v[16:17], 2.0, -v[30:31]
	s_movk_i32 s14, 0x700
	v_add_f64 v[88:89], v[86:87], v[52:53]
	v_fmac_f64_e32 v[92:93], s[12:13], v[74:75]
	v_add_f64 v[16:17], v[6:7], -v[16:17]
	v_and_or_b32 v83, v81, s14, v80
	v_fmac_f64_e32 v[26:27], s[12:13], v[48:49]
	v_add_f64 v[88:89], v[88:89], -v[54:55]
	v_fma_f64 v[20:21], v[20:21], 2.0, -v[92:93]
	v_fma_f64 v[6:7], v[6:7], 2.0, -v[16:17]
	v_lshl_add_u32 v83, v83, 3, 0
	v_fma_f64 v[22:23], v[22:23], 2.0, -v[24:25]
	v_fma_f64 v[18:19], v[18:19], 2.0, -v[86:87]
	;; [unrolled: 1-line block ×3, first 2 shown]
	ds_write2_b64 v83, v[6:7], v[20:21] offset1:16
	v_fma_f64 v[6:7], v[86:87], 2.0, -v[88:89]
	v_fma_f64 v[24:25], s[12:13], v[56:57], v[22:23]
	v_add_f64 v[86:87], v[18:19], -v[76:77]
	s_mov_b32 s14, s12
	v_fmac_f64_e32 v[24:25], s[6:7], v[66:67]
	v_add_f64 v[86:87], v[86:87], -v[78:79]
	v_fma_f64 v[20:21], s[14:15], v[32:33], v[90:91]
	v_fma_f64 v[22:23], v[22:23], 2.0, -v[24:25]
	v_fma_f64 v[18:19], v[18:19], 2.0, -v[86:87]
	v_fmac_f64_e32 v[20:21], s[6:7], v[42:43]
	ds_write2_b64 v83, v[18:19], v[22:23] offset0:32 offset1:48
	v_add_f64 v[18:19], v[4:5], -v[62:63]
	v_fma_f64 v[90:91], v[90:91], 2.0, -v[20:21]
	v_fma_f64 v[4:5], v[4:5], 2.0, -v[18:19]
	ds_write2_b64 v83, v[4:5], v[90:91] offset0:64 offset1:80
	ds_write2_b64 v83, v[6:7], v[84:85] offset0:96 offset1:112
	;; [unrolled: 1-line block ×6, first 2 shown]
.LBB0_23:
	s_or_b64 exec, exec, s[2:3]
	s_waitcnt lgkmcnt(0)
	s_barrier
	ds_read2st64_b64 v[4:7], v82 offset1:4
	ds_read2st64_b64 v[20:23], v82 offset0:8 offset1:12
	ds_read2st64_b64 v[16:19], v82 offset0:16 offset1:20
	;; [unrolled: 1-line block ×3, first 2 shown]
	s_waitcnt lgkmcnt(0)
	s_barrier
	s_and_saveexec_b64 s[2:3], s[0:1]
	s_cbranch_execz .LBB0_25
; %bb.24:
	v_mul_f64 v[2:3], v[2:3], v[38:39]
	v_fmac_f64_e32 v[2:3], v[14:15], v[36:37]
	v_add_f64 v[2:3], v[10:11], -v[2:3]
	v_add_f64 v[8:9], v[2:3], v[8:9]
	v_fma_f64 v[10:11], v[10:11], 2.0, -v[2:3]
	v_fma_f64 v[2:3], v[2:3], 2.0, -v[8:9]
	;; [unrolled: 1-line block ×4, first 2 shown]
	v_add_f64 v[28:29], v[2:3], -v[72:73]
	v_add_f64 v[36:37], v[8:9], v[64:65]
	v_add_f64 v[12:13], v[10:11], -v[12:13]
	v_add_f64 v[28:29], v[70:71], v[28:29]
	v_add_f64 v[36:37], v[60:61], v[36:37]
	s_mov_b32 s6, 0xa6aea964
	v_fma_f64 v[10:11], v[10:11], 2.0, -v[12:13]
	v_fma_f64 v[2:3], v[2:3], 2.0, -v[28:29]
	;; [unrolled: 1-line block ×3, first 2 shown]
	s_mov_b32 s1, 0xbfed906b
	s_mov_b32 s0, 0xcf328d46
	;; [unrolled: 1-line block ×5, first 2 shown]
	v_add_f64 v[14:15], v[10:11], -v[14:15]
	v_add_f64 v[34:35], v[12:13], v[34:35]
	v_fma_f64 v[40:41], s[0:1], v[74:75], v[2:3]
	v_fma_f64 v[50:51], s[12:13], v[66:67], v[8:9]
	s_mov_b32 s1, 0x3fed906b
	v_fma_f64 v[42:43], s[6:7], v[42:43], v[28:29]
	v_fma_f64 v[10:11], v[10:11], 2.0, -v[14:15]
	v_fma_f64 v[12:13], v[12:13], 2.0, -v[34:35]
	;; [unrolled: 1-line block ×3, first 2 shown]
	v_fmac_f64_e32 v[50:51], s[0:1], v[56:57]
	v_fmac_f64_e32 v[42:43], s[0:1], v[32:33]
	v_fma_f64 v[48:49], s[0:1], v[48:49], v[36:37]
	s_movk_i32 s0, 0x700
	v_add_f64 v[38:39], v[10:11], -v[38:39]
	v_fmac_f64_e32 v[40:41], s[6:7], v[58:59]
	v_add_f64 v[46:47], v[12:13], -v[78:79]
	v_add_f64 v[32:33], v[34:35], v[54:55]
	v_fmac_f64_e32 v[48:49], s[6:7], v[44:45]
	v_and_or_b32 v44, v81, s0, v80
	v_fma_f64 v[10:11], v[10:11], 2.0, -v[38:39]
	v_fma_f64 v[2:3], v[2:3], 2.0, -v[40:41]
	v_add_f64 v[46:47], v[76:77], v[46:47]
	v_add_f64 v[30:31], v[14:15], v[30:31]
	;; [unrolled: 1-line block ×3, first 2 shown]
	v_lshl_add_u32 v44, v44, 3, 0
	v_fma_f64 v[12:13], v[12:13], 2.0, -v[46:47]
	v_fma_f64 v[8:9], v[8:9], 2.0, -v[50:51]
	;; [unrolled: 1-line block ×6, first 2 shown]
	ds_write2_b64 v44, v[10:11], v[2:3] offset1:16
	ds_write2_b64 v44, v[12:13], v[8:9] offset0:32 offset1:48
	ds_write2_b64 v44, v[14:15], v[28:29] offset0:64 offset1:80
	;; [unrolled: 1-line block ×7, first 2 shown]
.LBB0_25:
	s_or_b64 exec, exec, s[2:3]
	s_waitcnt lgkmcnt(0)
	s_barrier
	s_and_saveexec_b64 s[0:1], vcc
	s_cbranch_execz .LBB0_27
; %bb.26:
	v_mul_u32_u24_e32 v0, 7, v0
	v_lshlrev_b32_e32 v0, 4, v0
	global_load_dwordx4 v[8:11], v0, s[4:5] offset:3888
	global_load_dwordx4 v[12:15], v0, s[4:5] offset:3856
	;; [unrolled: 1-line block ×7, first 2 shown]
	ds_read2st64_b64 v[48:51], v82 offset1:4
	ds_read2st64_b64 v[52:55], v82 offset0:16 offset1:20
	ds_read2st64_b64 v[56:59], v82 offset0:8 offset1:12
	;; [unrolled: 1-line block ×3, first 2 shown]
	s_mov_b32 s0, 0x667f3bcd
	s_mov_b32 s1, 0x3fe6a09e
	;; [unrolled: 1-line block ×4, first 2 shown]
	s_waitcnt vmcnt(6)
	v_mul_f64 v[2:3], v[16:17], v[10:11]
	s_waitcnt vmcnt(5) lgkmcnt(1)
	v_mul_f64 v[64:65], v[56:57], v[14:15]
	s_waitcnt vmcnt(4) lgkmcnt(0)
	v_mul_f64 v[66:67], v[60:61], v[30:31]
	s_waitcnt vmcnt(3)
	v_mul_f64 v[70:71], v[50:51], v[34:35]
	s_waitcnt vmcnt(2)
	;; [unrolled: 2-line block ×4, first 2 shown]
	v_mul_f64 v[76:77], v[26:27], v[46:47]
	v_mul_f64 v[34:35], v[6:7], v[34:35]
	;; [unrolled: 1-line block ×8, first 2 shown]
	v_fmac_f64_e32 v[2:3], v[52:53], v[8:9]
	v_fma_f64 v[20:21], v[20:21], v[12:13], -v[64:65]
	v_fma_f64 v[24:25], v[24:25], v[28:29], -v[66:67]
	v_fma_f64 v[6:7], v[6:7], v[32:33], -v[70:71]
	v_fma_f64 v[18:19], v[18:19], v[36:37], -v[72:73]
	v_fmac_f64_e32 v[34:35], v[32:33], v[50:51]
	v_fmac_f64_e32 v[38:39], v[36:37], v[54:55]
	v_fma_f64 v[22:23], v[22:23], v[40:41], -v[42:43]
	v_fma_f64 v[26:27], v[26:27], v[44:45], -v[46:47]
	v_fmac_f64_e32 v[74:75], v[58:59], v[40:41]
	v_fmac_f64_e32 v[76:77], v[62:63], v[44:45]
	v_fma_f64 v[8:9], v[16:17], v[8:9], -v[10:11]
	v_fmac_f64_e32 v[14:15], v[12:13], v[56:57]
	v_fmac_f64_e32 v[30:31], v[28:29], v[60:61]
	v_add_f64 v[10:11], v[48:49], -v[2:3]
	v_add_f64 v[2:3], v[20:21], -v[24:25]
	;; [unrolled: 1-line block ×8, first 2 shown]
	v_add_f64 v[28:29], v[10:11], v[2:3]
	v_add_f64 v[32:33], v[18:19], v[24:25]
	v_add_f64 v[30:31], v[12:13], -v[16:17]
	v_add_f64 v[36:37], v[8:9], -v[26:27]
	v_fma_f64 v[38:39], v[48:49], 2.0, -v[10:11]
	v_fma_f64 v[14:15], v[14:15], 2.0, -v[26:27]
	;; [unrolled: 1-line block ×7, first 2 shown]
	v_fma_f64 v[4:5], s[0:1], v[32:33], v[28:29]
	v_fma_f64 v[24:25], v[10:11], 2.0, -v[28:29]
	v_fma_f64 v[50:51], v[18:19], 2.0, -v[32:33]
	v_add_f64 v[22:23], v[38:39], -v[14:15]
	v_add_f64 v[46:47], v[34:35], -v[16:17]
	v_fma_f64 v[48:49], v[12:13], 2.0, -v[30:31]
	v_fmac_f64_e32 v[4:5], s[0:1], v[30:31]
	v_fma_f64 v[12:13], s[2:3], v[50:51], v[24:25]
	v_fma_f64 v[20:21], v[20:21], 2.0, -v[2:3]
	v_fma_f64 v[2:3], s[0:1], v[30:31], v[36:37]
	v_fma_f64 v[30:31], v[38:39], 2.0, -v[22:23]
	v_fma_f64 v[16:17], v[28:29], 2.0, -v[4:5]
	v_fmac_f64_e32 v[12:13], s[0:1], v[48:49]
	v_fma_f64 v[28:29], v[34:35], 2.0, -v[46:47]
	v_mad_u64_u32 v[34:35], s[0:1], s8, v1, 0
	v_add_f64 v[42:43], v[26:27], -v[6:7]
	v_add_f64 v[44:45], v[40:41], -v[20:21]
	v_fmac_f64_e32 v[2:3], s[2:3], v[32:33]
	v_add_f64 v[28:29], v[30:31], -v[28:29]
	v_mov_b32_e32 v0, v35
	v_fma_f64 v[52:53], v[8:9], 2.0, -v[36:37]
	v_fma_f64 v[14:15], v[36:37], 2.0, -v[2:3]
	;; [unrolled: 1-line block ×5, first 2 shown]
	v_mad_u64_u32 v[36:37], s[0:1], s9, v1, v[0:1]
	v_add_f64 v[26:27], v[30:31], -v[26:27]
	v_mov_b32_e32 v35, v36
	v_lshl_add_u64 v[36:37], v[68:69], 4, s[10:11]
	v_fma_f64 v[30:31], v[30:31], 2.0, -v[26:27]
	v_lshl_add_u64 v[34:35], v[34:35], 4, v[36:37]
	global_store_dwordx4 v[34:35], v[30:33], off
	v_fma_f64 v[10:11], s[2:3], v[48:49], v[52:53]
	v_add_f64 v[8:9], v[22:23], v[42:43]
	v_or_b32_e32 v32, 0x100, v1
	v_mad_u64_u32 v[30:31], s[0:1], s8, v32, 0
	v_mov_b32_e32 v0, v31
	v_mad_u64_u32 v[32:33], s[0:1], s9, v32, v[0:1]
	v_fmac_f64_e32 v[10:11], s[2:3], v[50:51]
	v_mov_b32_e32 v31, v32
	v_fma_f64 v[20:21], v[22:23], 2.0, -v[8:9]
	v_fma_f64 v[24:25], v[24:25], 2.0, -v[12:13]
	;; [unrolled: 1-line block ×3, first 2 shown]
	v_lshl_add_u64 v[30:31], v[30:31], 4, v[36:37]
	global_store_dwordx4 v[30:31], v[22:25], off
	v_add_f64 v[6:7], v[44:45], -v[46:47]
	v_fma_f64 v[18:19], v[44:45], 2.0, -v[6:7]
	v_or_b32_e32 v24, 0x200, v1
	v_mad_u64_u32 v[22:23], s[0:1], s8, v24, 0
	v_mov_b32_e32 v0, v23
	v_mad_u64_u32 v[24:25], s[0:1], s9, v24, v[0:1]
	v_mov_b32_e32 v23, v24
	v_lshl_add_u64 v[22:23], v[22:23], 4, v[36:37]
	global_store_dwordx4 v[22:23], v[18:21], off
	s_nop 1
	v_or_b32_e32 v20, 0x300, v1
	v_mad_u64_u32 v[18:19], s[0:1], s8, v20, 0
	v_mov_b32_e32 v0, v19
	v_mad_u64_u32 v[20:21], s[0:1], s9, v20, v[0:1]
	v_mov_b32_e32 v19, v20
	v_lshl_add_u64 v[18:19], v[18:19], 4, v[36:37]
	global_store_dwordx4 v[18:19], v[14:17], off
	s_nop 1
	v_or_b32_e32 v16, 0x400, v1
	v_mad_u64_u32 v[14:15], s[0:1], s8, v16, 0
	v_mov_b32_e32 v0, v15
	v_mad_u64_u32 v[16:17], s[0:1], s9, v16, v[0:1]
	v_mov_b32_e32 v15, v16
	v_lshl_add_u64 v[14:15], v[14:15], 4, v[36:37]
	v_or_b32_e32 v16, 0x500, v1
	global_store_dwordx4 v[14:15], v[26:29], off
	v_mad_u64_u32 v[14:15], s[0:1], s8, v16, 0
	v_mov_b32_e32 v0, v15
	v_mad_u64_u32 v[16:17], s[0:1], s9, v16, v[0:1]
	v_mov_b32_e32 v15, v16
	v_lshl_add_u64 v[14:15], v[14:15], 4, v[36:37]
	global_store_dwordx4 v[14:15], v[10:13], off
	s_nop 1
	v_or_b32_e32 v12, 0x600, v1
	v_mad_u64_u32 v[10:11], s[0:1], s8, v12, 0
	v_mov_b32_e32 v0, v11
	v_mad_u64_u32 v[12:13], s[0:1], s9, v12, v[0:1]
	v_mov_b32_e32 v11, v12
	v_lshl_add_u64 v[10:11], v[10:11], 4, v[36:37]
	global_store_dwordx4 v[10:11], v[6:9], off
	s_nop 1
	v_or_b32_e32 v7, 0x700, v1
	v_mad_u64_u32 v[0:1], s[0:1], s8, v7, 0
	v_mov_b32_e32 v6, v1
	v_mad_u64_u32 v[6:7], s[0:1], s9, v7, v[6:7]
	v_mov_b32_e32 v1, v6
	v_lshl_add_u64 v[0:1], v[0:1], 4, v[36:37]
	global_store_dwordx4 v[0:1], v[2:5], off
.LBB0_27:
	s_endpgm
	.section	.rodata,"a",@progbits
	.p2align	6, 0x0
	.amdhsa_kernel fft_rtc_fwd_len2048_factors_16_16_8_wgs_256_tpt_256_halfLds_dp_ip_CI_sbrr_dirReg
		.amdhsa_group_segment_fixed_size 0
		.amdhsa_private_segment_fixed_size 0
		.amdhsa_kernarg_size 88
		.amdhsa_user_sgpr_count 2
		.amdhsa_user_sgpr_dispatch_ptr 0
		.amdhsa_user_sgpr_queue_ptr 0
		.amdhsa_user_sgpr_kernarg_segment_ptr 1
		.amdhsa_user_sgpr_dispatch_id 0
		.amdhsa_user_sgpr_kernarg_preload_length 0
		.amdhsa_user_sgpr_kernarg_preload_offset 0
		.amdhsa_user_sgpr_private_segment_size 0
		.amdhsa_uses_dynamic_stack 0
		.amdhsa_enable_private_segment 0
		.amdhsa_system_sgpr_workgroup_id_x 1
		.amdhsa_system_sgpr_workgroup_id_y 0
		.amdhsa_system_sgpr_workgroup_id_z 0
		.amdhsa_system_sgpr_workgroup_info 0
		.amdhsa_system_vgpr_workitem_id 0
		.amdhsa_next_free_vgpr 99
		.amdhsa_next_free_sgpr 24
		.amdhsa_accum_offset 100
		.amdhsa_reserve_vcc 1
		.amdhsa_float_round_mode_32 0
		.amdhsa_float_round_mode_16_64 0
		.amdhsa_float_denorm_mode_32 3
		.amdhsa_float_denorm_mode_16_64 3
		.amdhsa_dx10_clamp 1
		.amdhsa_ieee_mode 1
		.amdhsa_fp16_overflow 0
		.amdhsa_tg_split 0
		.amdhsa_exception_fp_ieee_invalid_op 0
		.amdhsa_exception_fp_denorm_src 0
		.amdhsa_exception_fp_ieee_div_zero 0
		.amdhsa_exception_fp_ieee_overflow 0
		.amdhsa_exception_fp_ieee_underflow 0
		.amdhsa_exception_fp_ieee_inexact 0
		.amdhsa_exception_int_div_zero 0
	.end_amdhsa_kernel
	.text
.Lfunc_end0:
	.size	fft_rtc_fwd_len2048_factors_16_16_8_wgs_256_tpt_256_halfLds_dp_ip_CI_sbrr_dirReg, .Lfunc_end0-fft_rtc_fwd_len2048_factors_16_16_8_wgs_256_tpt_256_halfLds_dp_ip_CI_sbrr_dirReg
                                        ; -- End function
	.section	.AMDGPU.csdata,"",@progbits
; Kernel info:
; codeLenInByte = 7092
; NumSgprs: 30
; NumVgprs: 99
; NumAgprs: 0
; TotalNumVgprs: 99
; ScratchSize: 0
; MemoryBound: 1
; FloatMode: 240
; IeeeMode: 1
; LDSByteSize: 0 bytes/workgroup (compile time only)
; SGPRBlocks: 3
; VGPRBlocks: 12
; NumSGPRsForWavesPerEU: 30
; NumVGPRsForWavesPerEU: 99
; AccumOffset: 100
; Occupancy: 4
; WaveLimiterHint : 1
; COMPUTE_PGM_RSRC2:SCRATCH_EN: 0
; COMPUTE_PGM_RSRC2:USER_SGPR: 2
; COMPUTE_PGM_RSRC2:TRAP_HANDLER: 0
; COMPUTE_PGM_RSRC2:TGID_X_EN: 1
; COMPUTE_PGM_RSRC2:TGID_Y_EN: 0
; COMPUTE_PGM_RSRC2:TGID_Z_EN: 0
; COMPUTE_PGM_RSRC2:TIDIG_COMP_CNT: 0
; COMPUTE_PGM_RSRC3_GFX90A:ACCUM_OFFSET: 24
; COMPUTE_PGM_RSRC3_GFX90A:TG_SPLIT: 0
	.text
	.p2alignl 6, 3212836864
	.fill 256, 4, 3212836864
	.type	__hip_cuid_39144091de32a679,@object ; @__hip_cuid_39144091de32a679
	.section	.bss,"aw",@nobits
	.globl	__hip_cuid_39144091de32a679
__hip_cuid_39144091de32a679:
	.byte	0                               ; 0x0
	.size	__hip_cuid_39144091de32a679, 1

	.ident	"AMD clang version 19.0.0git (https://github.com/RadeonOpenCompute/llvm-project roc-6.4.0 25133 c7fe45cf4b819c5991fe208aaa96edf142730f1d)"
	.section	".note.GNU-stack","",@progbits
	.addrsig
	.addrsig_sym __hip_cuid_39144091de32a679
	.amdgpu_metadata
---
amdhsa.kernels:
  - .agpr_count:     0
    .args:
      - .actual_access:  read_only
        .address_space:  global
        .offset:         0
        .size:           8
        .value_kind:     global_buffer
      - .offset:         8
        .size:           8
        .value_kind:     by_value
      - .actual_access:  read_only
        .address_space:  global
        .offset:         16
        .size:           8
        .value_kind:     global_buffer
      - .actual_access:  read_only
        .address_space:  global
        .offset:         24
        .size:           8
        .value_kind:     global_buffer
      - .offset:         32
        .size:           8
        .value_kind:     by_value
      - .actual_access:  read_only
        .address_space:  global
        .offset:         40
        .size:           8
        .value_kind:     global_buffer
      - .actual_access:  read_only
        .address_space:  global
        .offset:         48
        .size:           8
        .value_kind:     global_buffer
      - .offset:         56
        .size:           4
        .value_kind:     by_value
      - .actual_access:  read_only
        .address_space:  global
        .offset:         64
        .size:           8
        .value_kind:     global_buffer
      - .actual_access:  read_only
        .address_space:  global
        .offset:         72
        .size:           8
        .value_kind:     global_buffer
      - .address_space:  global
        .offset:         80
        .size:           8
        .value_kind:     global_buffer
    .group_segment_fixed_size: 0
    .kernarg_segment_align: 8
    .kernarg_segment_size: 88
    .language:       OpenCL C
    .language_version:
      - 2
      - 0
    .max_flat_workgroup_size: 256
    .name:           fft_rtc_fwd_len2048_factors_16_16_8_wgs_256_tpt_256_halfLds_dp_ip_CI_sbrr_dirReg
    .private_segment_fixed_size: 0
    .sgpr_count:     30
    .sgpr_spill_count: 0
    .symbol:         fft_rtc_fwd_len2048_factors_16_16_8_wgs_256_tpt_256_halfLds_dp_ip_CI_sbrr_dirReg.kd
    .uniform_work_group_size: 1
    .uses_dynamic_stack: false
    .vgpr_count:     99
    .vgpr_spill_count: 0
    .wavefront_size: 64
amdhsa.target:   amdgcn-amd-amdhsa--gfx950
amdhsa.version:
  - 1
  - 2
...

	.end_amdgpu_metadata
